;; amdgpu-corpus repo=ROCm/rocFFT kind=compiled arch=gfx1100 opt=O3
	.text
	.amdgcn_target "amdgcn-amd-amdhsa--gfx1100"
	.amdhsa_code_object_version 6
	.protected	fft_rtc_fwd_len550_factors_11_10_5_wgs_55_tpt_55_dp_ip_CI_unitstride_sbrr_R2C_dirReg ; -- Begin function fft_rtc_fwd_len550_factors_11_10_5_wgs_55_tpt_55_dp_ip_CI_unitstride_sbrr_R2C_dirReg
	.globl	fft_rtc_fwd_len550_factors_11_10_5_wgs_55_tpt_55_dp_ip_CI_unitstride_sbrr_R2C_dirReg
	.p2align	8
	.type	fft_rtc_fwd_len550_factors_11_10_5_wgs_55_tpt_55_dp_ip_CI_unitstride_sbrr_R2C_dirReg,@function
fft_rtc_fwd_len550_factors_11_10_5_wgs_55_tpt_55_dp_ip_CI_unitstride_sbrr_R2C_dirReg: ; @fft_rtc_fwd_len550_factors_11_10_5_wgs_55_tpt_55_dp_ip_CI_unitstride_sbrr_R2C_dirReg
; %bb.0:
	s_clause 0x2
	s_load_b128 s[4:7], s[0:1], 0x0
	s_load_b64 s[8:9], s[0:1], 0x50
	s_load_b64 s[10:11], s[0:1], 0x18
	v_mul_u32_u24_e32 v1, 0x4a8, v0
	v_mov_b32_e32 v3, 0
	v_mov_b32_e32 v4, 0
	s_delay_alu instid0(VALU_DEP_3) | instskip(SKIP_1) | instid1(VALU_DEP_1)
	v_lshrrev_b32_e32 v2, 16, v1
	v_mov_b32_e32 v1, 0
	v_dual_mov_b32 v6, v1 :: v_dual_add_nc_u32 v5, s15, v2
	s_waitcnt lgkmcnt(0)
	v_cmp_lt_u64_e64 s2, s[6:7], 2
	s_delay_alu instid0(VALU_DEP_1)
	s_and_b32 vcc_lo, exec_lo, s2
	s_cbranch_vccnz .LBB0_8
; %bb.1:
	s_load_b64 s[2:3], s[0:1], 0x10
	v_mov_b32_e32 v3, 0
	s_add_u32 s12, s10, 8
	v_mov_b32_e32 v4, 0
	s_addc_u32 s13, s11, 0
	s_mov_b64 s[16:17], 1
	s_waitcnt lgkmcnt(0)
	s_add_u32 s14, s2, 8
	s_addc_u32 s15, s3, 0
.LBB0_2:                                ; =>This Inner Loop Header: Depth=1
	s_load_b64 s[18:19], s[14:15], 0x0
                                        ; implicit-def: $vgpr7_vgpr8
	s_mov_b32 s2, exec_lo
	s_waitcnt lgkmcnt(0)
	v_or_b32_e32 v2, s19, v6
	s_delay_alu instid0(VALU_DEP_1)
	v_cmpx_ne_u64_e32 0, v[1:2]
	s_xor_b32 s3, exec_lo, s2
	s_cbranch_execz .LBB0_4
; %bb.3:                                ;   in Loop: Header=BB0_2 Depth=1
	v_cvt_f32_u32_e32 v2, s18
	v_cvt_f32_u32_e32 v7, s19
	s_sub_u32 s2, 0, s18
	s_subb_u32 s20, 0, s19
	s_delay_alu instid0(VALU_DEP_1) | instskip(NEXT) | instid1(VALU_DEP_1)
	v_fmac_f32_e32 v2, 0x4f800000, v7
	v_rcp_f32_e32 v2, v2
	s_waitcnt_depctr 0xfff
	v_mul_f32_e32 v2, 0x5f7ffffc, v2
	s_delay_alu instid0(VALU_DEP_1) | instskip(NEXT) | instid1(VALU_DEP_1)
	v_mul_f32_e32 v7, 0x2f800000, v2
	v_trunc_f32_e32 v7, v7
	s_delay_alu instid0(VALU_DEP_1) | instskip(SKIP_1) | instid1(VALU_DEP_2)
	v_fmac_f32_e32 v2, 0xcf800000, v7
	v_cvt_u32_f32_e32 v7, v7
	v_cvt_u32_f32_e32 v2, v2
	s_delay_alu instid0(VALU_DEP_2) | instskip(NEXT) | instid1(VALU_DEP_2)
	v_mul_lo_u32 v8, s2, v7
	v_mul_hi_u32 v9, s2, v2
	v_mul_lo_u32 v10, s20, v2
	s_delay_alu instid0(VALU_DEP_2) | instskip(SKIP_1) | instid1(VALU_DEP_2)
	v_add_nc_u32_e32 v8, v9, v8
	v_mul_lo_u32 v9, s2, v2
	v_add_nc_u32_e32 v8, v8, v10
	s_delay_alu instid0(VALU_DEP_2) | instskip(NEXT) | instid1(VALU_DEP_2)
	v_mul_hi_u32 v10, v2, v9
	v_mul_lo_u32 v11, v2, v8
	v_mul_hi_u32 v12, v2, v8
	v_mul_hi_u32 v13, v7, v9
	v_mul_lo_u32 v9, v7, v9
	v_mul_hi_u32 v14, v7, v8
	v_mul_lo_u32 v8, v7, v8
	v_add_co_u32 v10, vcc_lo, v10, v11
	v_add_co_ci_u32_e32 v11, vcc_lo, 0, v12, vcc_lo
	s_delay_alu instid0(VALU_DEP_2) | instskip(NEXT) | instid1(VALU_DEP_2)
	v_add_co_u32 v9, vcc_lo, v10, v9
	v_add_co_ci_u32_e32 v9, vcc_lo, v11, v13, vcc_lo
	v_add_co_ci_u32_e32 v10, vcc_lo, 0, v14, vcc_lo
	s_delay_alu instid0(VALU_DEP_2) | instskip(NEXT) | instid1(VALU_DEP_2)
	v_add_co_u32 v8, vcc_lo, v9, v8
	v_add_co_ci_u32_e32 v9, vcc_lo, 0, v10, vcc_lo
	s_delay_alu instid0(VALU_DEP_2) | instskip(NEXT) | instid1(VALU_DEP_2)
	v_add_co_u32 v2, vcc_lo, v2, v8
	v_add_co_ci_u32_e32 v7, vcc_lo, v7, v9, vcc_lo
	s_delay_alu instid0(VALU_DEP_2) | instskip(SKIP_1) | instid1(VALU_DEP_3)
	v_mul_hi_u32 v8, s2, v2
	v_mul_lo_u32 v10, s20, v2
	v_mul_lo_u32 v9, s2, v7
	s_delay_alu instid0(VALU_DEP_1) | instskip(SKIP_1) | instid1(VALU_DEP_2)
	v_add_nc_u32_e32 v8, v8, v9
	v_mul_lo_u32 v9, s2, v2
	v_add_nc_u32_e32 v8, v8, v10
	s_delay_alu instid0(VALU_DEP_2) | instskip(NEXT) | instid1(VALU_DEP_2)
	v_mul_hi_u32 v10, v2, v9
	v_mul_lo_u32 v11, v2, v8
	v_mul_hi_u32 v12, v2, v8
	v_mul_hi_u32 v13, v7, v9
	v_mul_lo_u32 v9, v7, v9
	v_mul_hi_u32 v14, v7, v8
	v_mul_lo_u32 v8, v7, v8
	v_add_co_u32 v10, vcc_lo, v10, v11
	v_add_co_ci_u32_e32 v11, vcc_lo, 0, v12, vcc_lo
	s_delay_alu instid0(VALU_DEP_2) | instskip(NEXT) | instid1(VALU_DEP_2)
	v_add_co_u32 v9, vcc_lo, v10, v9
	v_add_co_ci_u32_e32 v9, vcc_lo, v11, v13, vcc_lo
	v_add_co_ci_u32_e32 v10, vcc_lo, 0, v14, vcc_lo
	s_delay_alu instid0(VALU_DEP_2) | instskip(NEXT) | instid1(VALU_DEP_2)
	v_add_co_u32 v8, vcc_lo, v9, v8
	v_add_co_ci_u32_e32 v9, vcc_lo, 0, v10, vcc_lo
	s_delay_alu instid0(VALU_DEP_2) | instskip(NEXT) | instid1(VALU_DEP_2)
	v_add_co_u32 v2, vcc_lo, v2, v8
	v_add_co_ci_u32_e32 v13, vcc_lo, v7, v9, vcc_lo
	s_delay_alu instid0(VALU_DEP_2) | instskip(SKIP_1) | instid1(VALU_DEP_3)
	v_mul_hi_u32 v14, v5, v2
	v_mad_u64_u32 v[9:10], null, v6, v2, 0
	v_mad_u64_u32 v[7:8], null, v5, v13, 0
	;; [unrolled: 1-line block ×3, first 2 shown]
	s_delay_alu instid0(VALU_DEP_2) | instskip(NEXT) | instid1(VALU_DEP_3)
	v_add_co_u32 v2, vcc_lo, v14, v7
	v_add_co_ci_u32_e32 v7, vcc_lo, 0, v8, vcc_lo
	s_delay_alu instid0(VALU_DEP_2) | instskip(NEXT) | instid1(VALU_DEP_2)
	v_add_co_u32 v2, vcc_lo, v2, v9
	v_add_co_ci_u32_e32 v2, vcc_lo, v7, v10, vcc_lo
	v_add_co_ci_u32_e32 v7, vcc_lo, 0, v12, vcc_lo
	s_delay_alu instid0(VALU_DEP_2) | instskip(NEXT) | instid1(VALU_DEP_2)
	v_add_co_u32 v2, vcc_lo, v2, v11
	v_add_co_ci_u32_e32 v9, vcc_lo, 0, v7, vcc_lo
	s_delay_alu instid0(VALU_DEP_2) | instskip(SKIP_1) | instid1(VALU_DEP_3)
	v_mul_lo_u32 v10, s19, v2
	v_mad_u64_u32 v[7:8], null, s18, v2, 0
	v_mul_lo_u32 v11, s18, v9
	s_delay_alu instid0(VALU_DEP_2) | instskip(NEXT) | instid1(VALU_DEP_2)
	v_sub_co_u32 v7, vcc_lo, v5, v7
	v_add3_u32 v8, v8, v11, v10
	s_delay_alu instid0(VALU_DEP_1) | instskip(NEXT) | instid1(VALU_DEP_1)
	v_sub_nc_u32_e32 v10, v6, v8
	v_subrev_co_ci_u32_e64 v10, s2, s19, v10, vcc_lo
	v_add_co_u32 v11, s2, v2, 2
	s_delay_alu instid0(VALU_DEP_1) | instskip(SKIP_3) | instid1(VALU_DEP_3)
	v_add_co_ci_u32_e64 v12, s2, 0, v9, s2
	v_sub_co_u32 v13, s2, v7, s18
	v_sub_co_ci_u32_e32 v8, vcc_lo, v6, v8, vcc_lo
	v_subrev_co_ci_u32_e64 v10, s2, 0, v10, s2
	v_cmp_le_u32_e32 vcc_lo, s18, v13
	s_delay_alu instid0(VALU_DEP_3) | instskip(SKIP_1) | instid1(VALU_DEP_4)
	v_cmp_eq_u32_e64 s2, s19, v8
	v_cndmask_b32_e64 v13, 0, -1, vcc_lo
	v_cmp_le_u32_e32 vcc_lo, s19, v10
	v_cndmask_b32_e64 v14, 0, -1, vcc_lo
	v_cmp_le_u32_e32 vcc_lo, s18, v7
	;; [unrolled: 2-line block ×3, first 2 shown]
	v_cndmask_b32_e64 v15, 0, -1, vcc_lo
	v_cmp_eq_u32_e32 vcc_lo, s19, v10
	s_delay_alu instid0(VALU_DEP_2) | instskip(SKIP_3) | instid1(VALU_DEP_3)
	v_cndmask_b32_e64 v7, v15, v7, s2
	v_cndmask_b32_e32 v10, v14, v13, vcc_lo
	v_add_co_u32 v13, vcc_lo, v2, 1
	v_add_co_ci_u32_e32 v14, vcc_lo, 0, v9, vcc_lo
	v_cmp_ne_u32_e32 vcc_lo, 0, v10
	s_delay_alu instid0(VALU_DEP_2) | instskip(NEXT) | instid1(VALU_DEP_4)
	v_cndmask_b32_e32 v8, v14, v12, vcc_lo
	v_cndmask_b32_e32 v10, v13, v11, vcc_lo
	v_cmp_ne_u32_e32 vcc_lo, 0, v7
	s_delay_alu instid0(VALU_DEP_2)
	v_dual_cndmask_b32 v7, v2, v10 :: v_dual_cndmask_b32 v8, v9, v8
.LBB0_4:                                ;   in Loop: Header=BB0_2 Depth=1
	s_and_not1_saveexec_b32 s2, s3
	s_cbranch_execz .LBB0_6
; %bb.5:                                ;   in Loop: Header=BB0_2 Depth=1
	v_cvt_f32_u32_e32 v2, s18
	s_sub_i32 s3, 0, s18
	s_delay_alu instid0(VALU_DEP_1) | instskip(SKIP_2) | instid1(VALU_DEP_1)
	v_rcp_iflag_f32_e32 v2, v2
	s_waitcnt_depctr 0xfff
	v_mul_f32_e32 v2, 0x4f7ffffe, v2
	v_cvt_u32_f32_e32 v2, v2
	s_delay_alu instid0(VALU_DEP_1) | instskip(NEXT) | instid1(VALU_DEP_1)
	v_mul_lo_u32 v7, s3, v2
	v_mul_hi_u32 v7, v2, v7
	s_delay_alu instid0(VALU_DEP_1) | instskip(NEXT) | instid1(VALU_DEP_1)
	v_add_nc_u32_e32 v2, v2, v7
	v_mul_hi_u32 v2, v5, v2
	s_delay_alu instid0(VALU_DEP_1) | instskip(SKIP_1) | instid1(VALU_DEP_2)
	v_mul_lo_u32 v7, v2, s18
	v_add_nc_u32_e32 v8, 1, v2
	v_sub_nc_u32_e32 v7, v5, v7
	s_delay_alu instid0(VALU_DEP_1) | instskip(SKIP_1) | instid1(VALU_DEP_2)
	v_subrev_nc_u32_e32 v9, s18, v7
	v_cmp_le_u32_e32 vcc_lo, s18, v7
	v_dual_cndmask_b32 v7, v7, v9 :: v_dual_cndmask_b32 v2, v2, v8
	s_delay_alu instid0(VALU_DEP_1) | instskip(NEXT) | instid1(VALU_DEP_2)
	v_cmp_le_u32_e32 vcc_lo, s18, v7
	v_add_nc_u32_e32 v8, 1, v2
	s_delay_alu instid0(VALU_DEP_1)
	v_dual_cndmask_b32 v7, v2, v8 :: v_dual_mov_b32 v8, v1
.LBB0_6:                                ;   in Loop: Header=BB0_2 Depth=1
	s_or_b32 exec_lo, exec_lo, s2
	s_load_b64 s[2:3], s[12:13], 0x0
	s_delay_alu instid0(VALU_DEP_1) | instskip(NEXT) | instid1(VALU_DEP_2)
	v_mul_lo_u32 v2, v8, s18
	v_mul_lo_u32 v11, v7, s19
	v_mad_u64_u32 v[9:10], null, v7, s18, 0
	s_add_u32 s16, s16, 1
	s_addc_u32 s17, s17, 0
	s_add_u32 s12, s12, 8
	s_addc_u32 s13, s13, 0
	;; [unrolled: 2-line block ×3, first 2 shown]
	s_delay_alu instid0(VALU_DEP_1) | instskip(SKIP_1) | instid1(VALU_DEP_2)
	v_add3_u32 v2, v10, v11, v2
	v_sub_co_u32 v9, vcc_lo, v5, v9
	v_sub_co_ci_u32_e32 v2, vcc_lo, v6, v2, vcc_lo
	s_waitcnt lgkmcnt(0)
	s_delay_alu instid0(VALU_DEP_2) | instskip(NEXT) | instid1(VALU_DEP_2)
	v_mul_lo_u32 v10, s3, v9
	v_mul_lo_u32 v2, s2, v2
	v_mad_u64_u32 v[5:6], null, s2, v9, v[3:4]
	v_cmp_ge_u64_e64 s2, s[16:17], s[6:7]
	s_delay_alu instid0(VALU_DEP_1) | instskip(NEXT) | instid1(VALU_DEP_2)
	s_and_b32 vcc_lo, exec_lo, s2
	v_add3_u32 v4, v10, v6, v2
	s_delay_alu instid0(VALU_DEP_3)
	v_mov_b32_e32 v3, v5
	s_cbranch_vccnz .LBB0_9
; %bb.7:                                ;   in Loop: Header=BB0_2 Depth=1
	v_dual_mov_b32 v5, v7 :: v_dual_mov_b32 v6, v8
	s_branch .LBB0_2
.LBB0_8:
	v_dual_mov_b32 v8, v6 :: v_dual_mov_b32 v7, v5
.LBB0_9:
	s_lshl_b64 s[2:3], s[6:7], 3
	v_mul_hi_u32 v5, 0x4a7904b, v0
	s_add_u32 s2, s10, s2
	s_addc_u32 s3, s11, s3
	s_load_b64 s[2:3], s[2:3], 0x0
	s_load_b64 s[0:1], s[0:1], 0x20
	s_waitcnt lgkmcnt(0)
	v_mul_lo_u32 v6, s2, v8
	v_mul_lo_u32 v9, s3, v7
	v_mad_u64_u32 v[1:2], null, s2, v7, v[3:4]
	v_mul_u32_u24_e32 v3, 55, v5
	v_cmp_gt_u64_e32 vcc_lo, s[0:1], v[7:8]
	s_delay_alu instid0(VALU_DEP_2) | instskip(NEXT) | instid1(VALU_DEP_4)
	v_sub_nc_u32_e32 v44, v0, v3
	v_add3_u32 v2, v9, v2, v6
	s_delay_alu instid0(VALU_DEP_2) | instskip(NEXT) | instid1(VALU_DEP_2)
	v_lshl_add_u32 v48, v44, 4, 0
	v_lshlrev_b64 v[46:47], 4, v[1:2]
	s_and_saveexec_b32 s1, vcc_lo
	s_cbranch_execz .LBB0_11
; %bb.10:
	v_mov_b32_e32 v45, 0
	s_delay_alu instid0(VALU_DEP_2) | instskip(NEXT) | instid1(VALU_DEP_1)
	v_add_co_u32 v2, s0, s8, v46
	v_add_co_ci_u32_e64 v3, s0, s9, v47, s0
	s_delay_alu instid0(VALU_DEP_3) | instskip(NEXT) | instid1(VALU_DEP_1)
	v_lshlrev_b64 v[0:1], 4, v[44:45]
	v_add_co_u32 v16, s0, v2, v0
	s_delay_alu instid0(VALU_DEP_1) | instskip(NEXT) | instid1(VALU_DEP_2)
	v_add_co_ci_u32_e64 v17, s0, v3, v1, s0
	v_add_co_u32 v36, s0, 0x1000, v16
	s_delay_alu instid0(VALU_DEP_1)
	v_add_co_ci_u32_e64 v37, s0, 0, v17, s0
	s_clause 0x9
	global_load_b128 v[0:3], v[16:17], off
	global_load_b128 v[4:7], v[16:17], off offset:880
	global_load_b128 v[8:11], v[16:17], off offset:1760
	global_load_b128 v[12:15], v[16:17], off offset:2640
	global_load_b128 v[16:19], v[16:17], off offset:3520
	global_load_b128 v[20:23], v[36:37], off offset:304
	global_load_b128 v[24:27], v[36:37], off offset:1184
	global_load_b128 v[28:31], v[36:37], off offset:2064
	global_load_b128 v[32:35], v[36:37], off offset:2944
	global_load_b128 v[36:39], v[36:37], off offset:3824
	s_waitcnt vmcnt(9)
	ds_store_b128 v48, v[0:3]
	s_waitcnt vmcnt(8)
	ds_store_b128 v48, v[4:7] offset:880
	s_waitcnt vmcnt(7)
	ds_store_b128 v48, v[8:11] offset:1760
	;; [unrolled: 2-line block ×9, first 2 shown]
.LBB0_11:
	s_or_b32 exec_lo, exec_lo, s1
	s_waitcnt lgkmcnt(0)
	s_barrier
	buffer_gl0_inv
	ds_load_b128 v[20:23], v48
	ds_load_b128 v[40:43], v48 offset:800
	ds_load_b128 v[36:39], v48 offset:1600
	;; [unrolled: 1-line block ×10, first 2 shown]
	s_mov_b32 s33, exec_lo
	s_waitcnt lgkmcnt(0)
	s_barrier
	buffer_gl0_inv
	v_cmpx_gt_u32_e32 50, v44
	s_cbranch_execz .LBB0_13
; %bb.12:
	v_add_f64 v[49:50], v[22:23], v[42:43]
	v_add_f64 v[51:52], v[20:21], v[40:41]
	;; [unrolled: 1-line block ×3, first 2 shown]
	v_add_f64 v[42:43], v[42:43], -v[2:3]
	s_mov_b32 s2, 0x9bcd5057
	s_mov_b32 s12, 0xfd768dbf
	;; [unrolled: 1-line block ×6, first 2 shown]
	v_add_f64 v[55:56], v[40:41], -v[0:1]
	v_add_f64 v[57:58], v[40:41], v[0:1]
	v_add_f64 v[71:72], v[38:39], v[6:7]
	;; [unrolled: 1-line block ×3, first 2 shown]
	v_add_f64 v[77:78], v[32:33], -v[8:9]
	v_add_f64 v[79:80], v[32:33], v[8:9]
	v_add_f64 v[81:82], v[34:35], -v[10:11]
	s_mov_b32 s6, 0x640f44db
	s_mov_b32 s18, 0x43842ef
	;; [unrolled: 1-line block ×21, first 2 shown]
	v_add_f64 v[49:50], v[49:50], v[38:39]
	v_add_f64 v[51:52], v[51:52], v[36:37]
	v_add_f64 v[38:39], v[38:39], -v[6:7]
	v_mul_f64 v[83:84], v[53:54], s[2:3]
	v_mul_f64 v[85:86], v[42:43], s[22:23]
	s_mov_b32 s30, s26
	v_add_f64 v[59:60], v[30:31], v[14:15]
	v_add_f64 v[87:88], v[36:37], -v[4:5]
	v_mul_f64 v[89:90], v[53:54], s[10:11]
	v_mul_f64 v[91:92], v[42:43], s[24:25]
	v_add_f64 v[36:37], v[36:37], v[4:5]
	v_mul_f64 v[93:94], v[53:54], s[6:7]
	v_mul_f64 v[95:96], v[42:43], s[28:29]
	;; [unrolled: 1-line block ×7, first 2 shown]
	v_add_f64 v[67:68], v[28:29], -v[12:13]
	v_add_f64 v[73:74], v[28:29], v[12:13]
	v_add_f64 v[75:76], v[30:31], -v[14:15]
	s_mov_b32 s35, 0x3fed1bb4
	s_mov_b32 s34, s20
	v_mul_f64 v[109:110], v[63:64], s[10:11]
	v_mul_f64 v[111:112], v[63:64], s[16:17]
	;; [unrolled: 1-line block ×6, first 2 shown]
	v_add_f64 v[61:62], v[26:27], v[18:19]
	v_add_f64 v[65:66], v[24:25], -v[16:17]
	v_add_f64 v[40:41], v[24:25], v[16:17]
	v_add_f64 v[69:70], v[26:27], -v[18:19]
	v_mad_u32_u24 v45, 0xa0, v44, v48
	v_add_f64 v[34:35], v[49:50], v[34:35]
	v_add_f64 v[32:33], v[51:52], v[32:33]
	v_mul_f64 v[121:122], v[38:39], s[30:31]
	v_fma_f64 v[129:130], v[55:56], s[12:13], v[83:84]
	v_fma_f64 v[131:132], v[57:58], s[2:3], v[85:86]
	;; [unrolled: 1-line block ×3, first 2 shown]
	v_fma_f64 v[85:86], v[57:58], s[2:3], -v[85:86]
	v_mul_f64 v[101:102], v[59:60], s[0:1]
	v_mul_f64 v[103:104], v[59:60], s[2:3]
	;; [unrolled: 1-line block ×12, first 2 shown]
	v_fma_f64 v[133:134], v[55:56], s[14:15], v[89:90]
	v_fma_f64 v[135:136], v[57:58], s[10:11], v[91:92]
	v_fma_f64 v[89:90], v[55:56], s[24:25], v[89:90]
	v_fma_f64 v[91:92], v[57:58], s[10:11], -v[91:92]
	v_fma_f64 v[137:138], v[55:56], s[18:19], v[93:94]
	v_fma_f64 v[139:140], v[57:58], s[6:7], v[95:96]
	v_fma_f64 v[93:94], v[55:56], s[28:29], v[93:94]
	v_fma_f64 v[95:96], v[57:58], s[6:7], -v[95:96]
	;; [unrolled: 4-line block ×4, first 2 shown]
	v_fma_f64 v[159:160], v[87:88], s[26:27], v[117:118]
	v_fma_f64 v[117:118], v[87:88], s[30:31], v[117:118]
	;; [unrolled: 1-line block ×3, first 2 shown]
	v_add_f64 v[30:31], v[34:35], v[30:31]
	v_add_f64 v[28:29], v[32:33], v[28:29]
	v_fma_f64 v[161:162], v[36:37], s[16:17], v[121:122]
	v_fma_f64 v[121:122], v[36:37], s[16:17], -v[121:122]
	v_add_f64 v[129:130], v[22:23], v[129:130]
	v_add_f64 v[83:84], v[22:23], v[83:84]
	;; [unrolled: 1-line block ×3, first 2 shown]
	v_fma_f64 v[55:56], v[67:68], s[20:21], v[101:102]
	v_fma_f64 v[57:58], v[67:68], s[34:35], v[101:102]
	;; [unrolled: 1-line block ×18, first 2 shown]
	v_add_f64 v[131:132], v[20:21], v[131:132]
	v_add_f64 v[133:134], v[22:23], v[133:134]
	;; [unrolled: 1-line block ×19, first 2 shown]
	v_fma_f64 v[28:29], v[77:78], s[28:29], v[63:64]
	v_fma_f64 v[30:31], v[87:88], s[28:29], v[49:50]
	;; [unrolled: 1-line block ×10, first 2 shown]
	v_fma_f64 v[119:120], v[36:37], s[6:7], -v[123:124]
	v_fma_f64 v[123:124], v[36:37], s[2:3], v[125:126]
	v_fma_f64 v[125:126], v[36:37], s[2:3], -v[125:126]
	v_fma_f64 v[163:164], v[36:37], s[10:11], v[127:128]
	;; [unrolled: 2-line block ×3, first 2 shown]
	v_fma_f64 v[36:37], v[36:37], s[0:1], -v[38:39]
	v_add_f64 v[38:39], v[159:160], v[129:130]
	v_mul_f64 v[129:130], v[81:82], s[24:25]
	v_mul_f64 v[159:160], v[81:82], s[26:27]
	v_add_f64 v[83:84], v[117:118], v[83:84]
	v_mul_f64 v[117:118], v[81:82], s[34:35]
	v_add_f64 v[85:86], v[121:122], v[85:86]
	v_mul_f64 v[121:122], v[81:82], s[12:13]
	v_mul_f64 v[81:82], v[81:82], s[28:29]
	v_add_f64 v[131:132], v[161:162], v[131:132]
	v_mul_f64 v[161:162], v[69:70], s[34:35]
	v_add_f64 v[18:19], v[26:27], v[18:19]
	v_add_f64 v[16:17], v[24:25], v[16:17]
	;; [unrolled: 1-line block ×13, first 2 shown]
	v_mul_f64 v[119:120], v[75:76], s[34:35]
	v_mul_f64 v[123:124], v[75:76], s[22:23]
	;; [unrolled: 1-line block ×3, first 2 shown]
	v_add_f64 v[99:100], v[127:128], v[99:100]
	v_add_f64 v[95:96], v[125:126], v[95:96]
	v_add_f64 v[143:144], v[163:164], v[143:144]
	v_fma_f64 v[133:134], v[79:80], s[10:11], v[129:130]
	v_fma_f64 v[129:130], v[79:80], s[10:11], -v[129:130]
	v_fma_f64 v[135:136], v[79:80], s[16:17], v[159:160]
	v_fma_f64 v[159:160], v[79:80], s[16:17], -v[159:160]
	;; [unrolled: 2-line block ×5, first 2 shown]
	v_mul_f64 v[81:82], v[75:76], s[18:19]
	v_mul_f64 v[75:76], v[75:76], s[24:25]
	v_add_f64 v[20:21], v[36:37], v[20:21]
	v_mul_f64 v[125:126], v[61:62], s[0:1]
	v_add_f64 v[14:15], v[18:19], v[14:15]
	v_add_f64 v[12:13], v[16:17], v[12:13]
	;; [unrolled: 1-line block ×3, first 2 shown]
	v_mul_f64 v[141:142], v[61:62], s[10:11]
	v_mul_f64 v[97:98], v[61:62], s[16:17]
	;; [unrolled: 1-line block ×4, first 2 shown]
	v_add_f64 v[30:31], v[109:110], v[30:31]
	v_add_f64 v[38:39], v[67:68], v[38:39]
	;; [unrolled: 1-line block ×6, first 2 shown]
	v_mul_f64 v[93:94], v[61:62], s[6:7]
	v_mul_f64 v[61:62], v[61:62], s[2:3]
	v_add_f64 v[42:43], v[111:112], v[42:43]
	v_add_f64 v[53:54], v[155:156], v[53:54]
	;; [unrolled: 1-line block ×3, first 2 shown]
	v_fma_f64 v[18:19], v[73:74], s[0:1], v[119:120]
	v_fma_f64 v[36:37], v[73:74], s[0:1], -v[119:120]
	v_fma_f64 v[71:72], v[73:74], s[2:3], v[123:124]
	v_fma_f64 v[119:120], v[73:74], s[2:3], -v[123:124]
	;; [unrolled: 2-line block ×3, first 2 shown]
	v_add_f64 v[131:132], v[133:134], v[131:132]
	v_add_f64 v[85:86], v[129:130], v[85:86]
	;; [unrolled: 1-line block ×9, first 2 shown]
	v_fma_f64 v[109:110], v[40:41], s[0:1], -v[161:162]
	v_fma_f64 v[147:148], v[73:74], s[6:7], v[81:82]
	v_fma_f64 v[81:82], v[73:74], s[6:7], -v[81:82]
	v_fma_f64 v[163:164], v[73:74], s[10:11], v[75:76]
	v_fma_f64 v[73:74], v[73:74], s[10:11], -v[75:76]
	v_mul_f64 v[75:76], v[69:70], s[30:31]
	v_mul_f64 v[69:70], v[69:70], s[22:23]
	v_add_f64 v[20:21], v[79:80], v[20:21]
	v_add_f64 v[10:11], v[14:15], v[10:11]
	;; [unrolled: 1-line block ×4, first 2 shown]
	v_fma_f64 v[133:134], v[65:66], s[20:21], v[125:126]
	v_fma_f64 v[28:29], v[65:66], s[14:15], v[141:142]
	;; [unrolled: 1-line block ×5, first 2 shown]
	v_add_f64 v[30:31], v[101:102], v[30:31]
	v_add_f64 v[49:50], v[149:150], v[49:50]
	;; [unrolled: 1-line block ×3, first 2 shown]
	v_fma_f64 v[79:80], v[65:66], s[24:25], v[141:142]
	v_fma_f64 v[113:114], v[40:41], s[10:11], -v[145:146]
	v_add_f64 v[38:39], v[55:56], v[38:39]
	v_add_f64 v[55:56], v[57:58], v[83:84]
	;; [unrolled: 1-line block ×3, first 2 shown]
	v_fma_f64 v[67:68], v[65:66], s[18:19], v[93:94]
	v_fma_f64 v[93:94], v[65:66], s[28:29], v[93:94]
	;; [unrolled: 1-line block ×5, first 2 shown]
	v_add_f64 v[18:19], v[18:19], v[131:132]
	v_fma_f64 v[16:17], v[40:41], s[6:7], -v[127:128]
	v_add_f64 v[57:58], v[71:72], v[87:88]
	v_fma_f64 v[65:66], v[40:41], s[0:1], v[161:162]
	v_fma_f64 v[111:112], v[40:41], s[10:11], v[145:146]
	v_add_f64 v[71:72], v[139:140], v[26:27]
	v_add_f64 v[36:37], v[36:37], v[85:86]
	;; [unrolled: 1-line block ×9, first 2 shown]
	v_fma_f64 v[115:116], v[40:41], s[16:17], -v[75:76]
	v_fma_f64 v[75:76], v[40:41], s[16:17], v[75:76]
	v_fma_f64 v[117:118], v[40:41], s[2:3], v[69:70]
	v_fma_f64 v[40:41], v[40:41], s[2:3], -v[69:70]
	v_add_f64 v[69:70], v[119:120], v[89:90]
	v_add_f64 v[73:74], v[73:74], v[20:21]
	;; [unrolled: 1-line block ×27, first 2 shown]
	ds_store_b128 v45, v[28:31] offset:32
	ds_store_b128 v45, v[24:27] offset:48
	;; [unrolled: 1-line block ×9, first 2 shown]
	ds_store_b128 v45, v[0:3]
	ds_store_b128 v45, v[36:39] offset:160
.LBB0_13:
	s_or_b32 exec_lo, exec_lo, s33
	v_and_b32_e32 v0, 0xff, v44
	s_waitcnt lgkmcnt(0)
	s_barrier
	buffer_gl0_inv
	s_mov_b32 s6, 0x134454ff
	v_mul_lo_u16 v0, 0x75, v0
	s_mov_b32 s7, 0x3fee6f0e
	s_mov_b32 s13, 0xbfee6f0e
	;; [unrolled: 1-line block ×4, first 2 shown]
	v_lshrrev_b16 v0, 8, v0
	s_mov_b32 s3, 0x3fe2cf23
	s_mov_b32 s11, 0xbfe2cf23
	;; [unrolled: 1-line block ×4, first 2 shown]
	v_sub_nc_u16 v1, v44, v0
	s_mov_b32 s15, 0x3fd3c6ef
	s_mov_b32 s0, 0x9b97f4a8
	;; [unrolled: 1-line block ×3, first 2 shown]
	s_delay_alu instid0(VALU_DEP_1) | instskip(NEXT) | instid1(VALU_DEP_1)
	v_lshrrev_b16 v1, 1, v1
	v_and_b32_e32 v1, 0x7f, v1
	s_delay_alu instid0(VALU_DEP_1) | instskip(NEXT) | instid1(VALU_DEP_1)
	v_add_nc_u16 v0, v1, v0
	v_lshrrev_b16 v1, 3, v0
	s_delay_alu instid0(VALU_DEP_1) | instskip(NEXT) | instid1(VALU_DEP_1)
	v_mul_lo_u16 v0, v1, 11
	v_sub_nc_u16 v0, v44, v0
	s_delay_alu instid0(VALU_DEP_1) | instskip(NEXT) | instid1(VALU_DEP_1)
	v_and_b32_e32 v0, 0xff, v0
	v_mul_u32_u24_e32 v2, 9, v0
	v_lshlrev_b32_e32 v0, 4, v0
	s_delay_alu instid0(VALU_DEP_2)
	v_lshlrev_b32_e32 v34, 4, v2
	s_clause 0x8
	global_load_b128 v[2:5], v34, s[4:5] offset:32
	global_load_b128 v[6:9], v34, s[4:5] offset:64
	;; [unrolled: 1-line block ×4, first 2 shown]
	global_load_b128 v[18:21], v34, s[4:5]
	global_load_b128 v[22:25], v34, s[4:5] offset:16
	global_load_b128 v[26:29], v34, s[4:5] offset:48
	;; [unrolled: 1-line block ×4, first 2 shown]
	ds_load_b128 v[38:41], v48 offset:2640
	ds_load_b128 v[49:52], v48 offset:4400
	;; [unrolled: 1-line block ×6, first 2 shown]
	s_waitcnt vmcnt(8) lgkmcnt(5)
	v_mul_f64 v[42:43], v[40:41], v[4:5]
	v_mul_f64 v[4:5], v[38:39], v[4:5]
	s_waitcnt vmcnt(7) lgkmcnt(4)
	v_mul_f64 v[69:70], v[51:52], v[8:9]
	v_mul_f64 v[8:9], v[49:50], v[8:9]
	s_waitcnt vmcnt(6) lgkmcnt(3)
	v_mul_f64 v[71:72], v[53:54], v[12:13]
	s_waitcnt vmcnt(5) lgkmcnt(2)
	v_mul_f64 v[73:74], v[57:58], v[16:17]
	v_mul_f64 v[16:17], v[59:60], v[16:17]
	;; [unrolled: 1-line block ×3, first 2 shown]
	s_waitcnt vmcnt(4) lgkmcnt(1)
	v_mul_f64 v[75:76], v[63:64], v[20:21]
	v_mul_f64 v[20:21], v[61:62], v[20:21]
	v_fma_f64 v[38:39], v[38:39], v[2:3], -v[42:43]
	v_fma_f64 v[40:41], v[40:41], v[2:3], v[4:5]
	v_fma_f64 v[42:43], v[49:50], v[6:7], -v[69:70]
	v_fma_f64 v[49:50], v[51:52], v[6:7], v[8:9]
	v_fma_f64 v[51:52], v[55:56], v[10:11], v[71:72]
	;; [unrolled: 1-line block ×3, first 2 shown]
	v_fma_f64 v[14:15], v[57:58], v[14:15], -v[16:17]
	v_fma_f64 v[16:17], v[53:54], v[10:11], -v[12:13]
	ds_load_b128 v[2:5], v48 offset:3520
	ds_load_b128 v[6:9], v48 offset:5280
	;; [unrolled: 1-line block ×3, first 2 shown]
	s_waitcnt vmcnt(3) lgkmcnt(3)
	v_mul_f64 v[53:54], v[67:68], v[24:25]
	v_mul_f64 v[24:25], v[65:66], v[24:25]
	v_fma_f64 v[61:62], v[61:62], v[18:19], -v[75:76]
	v_fma_f64 v[18:19], v[63:64], v[18:19], v[20:21]
	s_waitcnt vmcnt(2) lgkmcnt(2)
	v_mul_f64 v[57:58], v[4:5], v[28:29]
	v_mul_f64 v[28:29], v[2:3], v[28:29]
	s_waitcnt vmcnt(1) lgkmcnt(1)
	v_mul_f64 v[59:60], v[8:9], v[32:33]
	s_waitcnt vmcnt(0) lgkmcnt(0)
	v_mul_f64 v[69:70], v[12:13], v[36:37]
	v_mul_f64 v[32:33], v[6:7], v[32:33]
	;; [unrolled: 1-line block ×3, first 2 shown]
	v_add_f64 v[75:76], v[42:43], -v[38:39]
	v_add_f64 v[79:80], v[40:41], -v[49:50]
	v_add_f64 v[20:21], v[49:50], v[51:52]
	v_add_f64 v[63:64], v[40:41], v[55:56]
	;; [unrolled: 1-line block ×4, first 2 shown]
	v_add_f64 v[77:78], v[16:17], -v[14:15]
	v_fma_f64 v[53:54], v[65:66], v[22:23], -v[53:54]
	v_fma_f64 v[22:23], v[67:68], v[22:23], v[24:25]
	v_add_f64 v[81:82], v[55:56], -v[51:52]
	v_add_f64 v[83:84], v[49:50], -v[40:41]
	;; [unrolled: 1-line block ×3, first 2 shown]
	v_fma_f64 v[24:25], v[2:3], v[26:27], -v[57:58]
	v_fma_f64 v[26:27], v[4:5], v[26:27], v[28:29]
	v_fma_f64 v[6:7], v[6:7], v[30:31], -v[59:60]
	v_fma_f64 v[10:11], v[10:11], v[34:35], -v[69:70]
	v_fma_f64 v[8:9], v[8:9], v[30:31], v[32:33]
	v_fma_f64 v[12:13], v[12:13], v[34:35], v[36:37]
	v_add_f64 v[28:29], v[40:41], -v[55:56]
	v_add_f64 v[32:33], v[38:39], -v[14:15]
	;; [unrolled: 1-line block ×4, first 2 shown]
	ds_load_b128 v[2:5], v48
	s_waitcnt lgkmcnt(0)
	s_barrier
	buffer_gl0_inv
	v_fma_f64 v[20:21], v[20:21], -0.5, v[18:19]
	v_fma_f64 v[36:37], v[63:64], -0.5, v[18:19]
	;; [unrolled: 1-line block ×4, first 2 shown]
	v_add_f64 v[71:72], v[38:39], -v[42:43]
	v_add_f64 v[73:74], v[14:15], -v[16:17]
	v_add_f64 v[38:39], v[61:62], v[38:39]
	v_add_f64 v[18:19], v[18:19], v[40:41]
	;; [unrolled: 1-line block ×8, first 2 shown]
	v_add_f64 v[97:98], v[22:23], -v[12:13]
	v_add_f64 v[99:100], v[26:27], -v[8:9]
	;; [unrolled: 1-line block ×4, first 2 shown]
	v_fma_f64 v[87:88], v[32:33], s[12:13], v[20:21]
	v_fma_f64 v[89:90], v[34:35], s[6:7], v[36:37]
	;; [unrolled: 1-line block ×8, first 2 shown]
	v_add_f64 v[38:39], v[38:39], v[42:43]
	v_add_f64 v[18:19], v[18:19], v[49:50]
	v_fma_f64 v[40:41], v[63:64], -0.5, v[2:3]
	v_fma_f64 v[2:3], v[65:66], -0.5, v[2:3]
	;; [unrolled: 1-line block ×4, first 2 shown]
	v_add_f64 v[63:64], v[71:72], v[73:74]
	v_add_f64 v[65:66], v[75:76], v[77:78]
	;; [unrolled: 1-line block ×4, first 2 shown]
	v_add_f64 v[79:80], v[12:13], -v[8:9]
	v_add_f64 v[81:82], v[8:9], -v[12:13]
	v_fma_f64 v[71:72], v[34:35], s[10:11], v[87:88]
	v_fma_f64 v[73:74], v[32:33], s[10:11], v[89:90]
	;; [unrolled: 1-line block ×8, first 2 shown]
	v_add_f64 v[34:35], v[53:54], -v[24:25]
	v_add_f64 v[53:54], v[24:25], -v[53:54]
	;; [unrolled: 1-line block ×4, first 2 shown]
	v_add_f64 v[24:25], v[95:96], v[24:25]
	v_add_f64 v[26:27], v[101:102], v[26:27]
	v_add_f64 v[36:37], v[10:11], -v[6:7]
	v_add_f64 v[57:58], v[6:7], -v[10:11]
	v_add_f64 v[16:17], v[38:39], v[16:17]
	v_add_f64 v[18:19], v[18:19], v[51:52]
	v_fma_f64 v[42:43], v[97:98], s[6:7], v[40:41]
	v_fma_f64 v[40:41], v[97:98], s[12:13], v[40:41]
	;; [unrolled: 1-line block ×16, first 2 shown]
	v_add_f64 v[22:23], v[22:23], v[81:82]
	v_add_f64 v[6:7], v[24:25], v[6:7]
	;; [unrolled: 1-line block ×8, first 2 shown]
	v_fma_f64 v[24:25], v[99:100], s[2:3], v[42:43]
	v_fma_f64 v[26:27], v[99:100], s[10:11], v[40:41]
	;; [unrolled: 1-line block ×8, first 2 shown]
	v_mul_f64 v[51:52], v[71:72], s[2:3]
	v_mul_f64 v[57:58], v[73:74], s[6:7]
	;; [unrolled: 1-line block ×8, first 2 shown]
	v_add_f64 v[10:11], v[6:7], v[10:11]
	v_add_f64 v[12:13], v[8:9], v[12:13]
	v_fma_f64 v[55:56], v[34:35], s[14:15], v[24:25]
	v_fma_f64 v[79:80], v[34:35], s[14:15], v[26:27]
	;; [unrolled: 1-line block ×8, first 2 shown]
	v_mov_b32_e32 v4, 0
	v_fma_f64 v[30:31], v[30:31], s[0:1], v[51:52]
	v_fma_f64 v[36:37], v[28:29], s[14:15], v[57:58]
	v_fma_f64 v[49:50], v[32:33], s[6:7], -v[59:60]
	v_fma_f64 v[51:52], v[20:21], s[2:3], -v[61:62]
	v_fma_f64 v[57:58], v[71:72], s[0:1], v[63:64]
	v_fma_f64 v[59:60], v[73:74], s[14:15], v[65:66]
	v_fma_f64 v[61:62], v[75:76], s[12:13], -v[67:68]
	v_fma_f64 v[63:64], v[77:78], s[10:11], -v[69:70]
	s_add_u32 s1, s4, 0x21b0
	v_add_f64 v[5:6], v[10:11], v[14:15]
	v_add_f64 v[7:8], v[12:13], v[16:17]
	v_add_f64 v[9:10], v[10:11], -v[14:15]
	v_add_f64 v[11:12], v[12:13], -v[16:17]
	v_add_f64 v[13:14], v[55:56], v[30:31]
	v_add_f64 v[17:18], v[34:35], v[36:37]
	v_add_f64 v[21:22], v[2:3], v[49:50]
	v_add_f64 v[25:26], v[79:80], v[51:52]
	v_add_f64 v[15:16], v[39:40], v[57:58]
	v_add_f64 v[19:20], v[53:54], v[59:60]
	v_add_f64 v[23:24], v[81:82], v[61:62]
	v_add_f64 v[27:28], v[41:42], v[63:64]
	v_add_f64 v[29:30], v[55:56], -v[30:31]
	v_add_f64 v[31:32], v[39:40], -v[57:58]
	v_add_f64 v[33:34], v[34:35], -v[36:37]
	v_add_f64 v[35:36], v[53:54], -v[59:60]
	v_add_f64 v[37:38], v[2:3], -v[49:50]
	v_add_f64 v[39:40], v[81:82], -v[61:62]
	v_add_f64 v[49:50], v[79:80], -v[51:52]
	v_add_f64 v[51:52], v[41:42], -v[63:64]
	v_lshlrev_b32_e32 v3, 2, v44
	v_and_b32_e32 v41, 0xffff, v1
	s_delay_alu instid0(VALU_DEP_2) | instskip(SKIP_1) | instid1(VALU_DEP_3)
	v_lshlrev_b64 v[1:2], 4, v[3:4]
	v_add_nc_u32_e32 v3, 0xdc, v3
	v_mul_u32_u24_e32 v43, 0x6e0, v41
	s_delay_alu instid0(VALU_DEP_2) | instskip(NEXT) | instid1(VALU_DEP_2)
	v_lshlrev_b64 v[41:42], 4, v[3:4]
	v_add3_u32 v0, 0, v43, v0
	v_add_co_u32 v53, s0, s4, v1
	s_delay_alu instid0(VALU_DEP_1)
	v_add_co_ci_u32_e64 v54, s0, s5, v2, s0
	ds_store_b128 v0, v[5:8]
	ds_store_b128 v0, v[13:16] offset:176
	ds_store_b128 v0, v[17:20] offset:352
	;; [unrolled: 1-line block ×9, first 2 shown]
	v_add_co_u32 v29, s0, s4, v41
	s_delay_alu instid0(VALU_DEP_1)
	v_add_co_ci_u32_e64 v30, s0, s5, v42, s0
	s_waitcnt lgkmcnt(0)
	s_barrier
	buffer_gl0_inv
	s_clause 0x7
	global_load_b128 v[0:3], v[53:54], off offset:1600
	global_load_b128 v[5:8], v[53:54], off offset:1584
	;; [unrolled: 1-line block ×8, first 2 shown]
	ds_load_b128 v[33:36], v48 offset:1760
	ds_load_b128 v[37:40], v48 offset:3520
	;; [unrolled: 1-line block ×8, first 2 shown]
	s_waitcnt vmcnt(5) lgkmcnt(5)
	v_mul_f64 v[75:76], v[51:52], v[11:12]
	v_mul_f64 v[11:12], v[49:50], v[11:12]
	s_waitcnt vmcnt(4) lgkmcnt(4)
	v_mul_f64 v[77:78], v[55:56], v[15:16]
	v_mul_f64 v[73:74], v[39:40], v[2:3]
	;; [unrolled: 1-line block ×4, first 2 shown]
	s_waitcnt vmcnt(2) lgkmcnt(2)
	v_mul_f64 v[81:82], v[63:64], v[23:24]
	v_mul_f64 v[23:24], v[61:62], v[23:24]
	s_waitcnt vmcnt(1) lgkmcnt(1)
	v_mul_f64 v[83:84], v[67:68], v[27:28]
	v_mul_f64 v[27:28], v[65:66], v[27:28]
	v_mul_f64 v[7:8], v[33:34], v[7:8]
	v_mul_f64 v[15:16], v[53:54], v[15:16]
	v_mul_f64 v[79:80], v[59:60], v[19:20]
	s_waitcnt vmcnt(0) lgkmcnt(0)
	v_mul_f64 v[85:86], v[71:72], v[31:32]
	v_mul_f64 v[19:20], v[57:58], v[19:20]
	;; [unrolled: 1-line block ×3, first 2 shown]
	v_fma_f64 v[37:38], v[37:38], v[0:1], -v[73:74]
	v_fma_f64 v[33:34], v[33:34], v[5:6], -v[41:42]
	v_fma_f64 v[39:40], v[39:40], v[0:1], v[2:3]
	v_fma_f64 v[41:42], v[49:50], v[9:10], -v[75:76]
	v_fma_f64 v[9:10], v[51:52], v[9:10], v[11:12]
	v_fma_f64 v[11:12], v[53:54], v[13:14], -v[77:78]
	v_fma_f64 v[49:50], v[61:62], v[21:22], -v[81:82]
	v_fma_f64 v[21:22], v[63:64], v[21:22], v[23:24]
	v_fma_f64 v[23:24], v[65:66], v[25:26], -v[83:84]
	v_fma_f64 v[25:26], v[67:68], v[25:26], v[27:28]
	v_fma_f64 v[35:36], v[35:36], v[5:6], v[7:8]
	;; [unrolled: 1-line block ×3, first 2 shown]
	v_fma_f64 v[15:16], v[57:58], v[17:18], -v[79:80]
	v_fma_f64 v[51:52], v[69:70], v[29:30], -v[85:86]
	v_fma_f64 v[17:18], v[59:60], v[17:18], v[19:20]
	v_fma_f64 v[19:20], v[71:72], v[29:30], v[31:32]
	ds_load_b128 v[0:3], v48
	ds_load_b128 v[5:8], v48 offset:880
	s_waitcnt lgkmcnt(0)
	s_barrier
	buffer_gl0_inv
	v_add_f64 v[63:64], v[0:1], v[33:34]
	v_add_f64 v[27:28], v[37:38], v[41:42]
	;; [unrolled: 1-line block ×4, first 2 shown]
	v_add_f64 v[71:72], v[33:34], -v[11:12]
	v_add_f64 v[67:68], v[39:40], -v[9:10]
	v_add_f64 v[55:56], v[49:50], v[23:24]
	v_add_f64 v[59:60], v[21:22], v[25:26]
	;; [unrolled: 1-line block ×8, first 2 shown]
	v_add_f64 v[65:66], v[35:36], -v[13:14]
	v_add_f64 v[79:80], v[17:18], -v[19:20]
	;; [unrolled: 1-line block ×17, first 2 shown]
	v_fma_f64 v[27:28], v[27:28], -0.5, v[0:1]
	v_fma_f64 v[31:32], v[31:32], -0.5, v[2:3]
	v_fma_f64 v[0:1], v[29:30], -0.5, v[0:1]
	v_add_f64 v[29:30], v[21:22], -v[25:26]
	v_fma_f64 v[55:56], v[55:56], -0.5, v[5:6]
	v_fma_f64 v[59:60], v[59:60], -0.5, v[7:8]
	v_add_f64 v[39:40], v[69:70], v[39:40]
	v_fma_f64 v[2:3], v[53:54], -0.5, v[2:3]
	v_add_f64 v[53:54], v[49:50], -v[23:24]
	v_fma_f64 v[5:6], v[57:58], -0.5, v[5:6]
	v_add_f64 v[57:58], v[33:34], -v[37:38]
	;; [unrolled: 2-line block ×3, first 2 shown]
	v_add_f64 v[33:34], v[37:38], -v[33:34]
	v_add_f64 v[37:38], v[63:64], v[37:38]
	v_add_f64 v[49:50], v[75:76], v[49:50]
	;; [unrolled: 1-line block ×5, first 2 shown]
	v_fma_f64 v[63:64], v[65:66], s[6:7], v[27:28]
	v_fma_f64 v[75:76], v[71:72], s[12:13], v[31:32]
	v_fma_f64 v[27:28], v[65:66], s[12:13], v[27:28]
	v_fma_f64 v[69:70], v[67:68], s[12:13], v[0:1]
	v_fma_f64 v[0:1], v[67:68], s[6:7], v[0:1]
	v_fma_f64 v[103:104], v[79:80], s[6:7], v[55:56]
	v_fma_f64 v[105:106], v[81:82], s[12:13], v[59:60]
	v_fma_f64 v[31:32], v[71:72], s[6:7], v[31:32]
	v_fma_f64 v[77:78], v[73:74], s[6:7], v[2:3]
	v_fma_f64 v[2:3], v[73:74], s[12:13], v[2:3]
	v_fma_f64 v[107:108], v[29:30], s[12:13], v[5:6]
	v_fma_f64 v[5:6], v[29:30], s[6:7], v[5:6]
	v_fma_f64 v[109:110], v[53:54], s[6:7], v[7:8]
	v_fma_f64 v[7:8], v[53:54], s[12:13], v[7:8]
	v_fma_f64 v[55:56], v[79:80], s[12:13], v[55:56]
	v_fma_f64 v[59:60], v[81:82], s[6:7], v[59:60]
	v_add_f64 v[57:58], v[57:58], v[61:62]
	v_add_f64 v[61:62], v[85:86], v[87:88]
	;; [unrolled: 1-line block ×10, first 2 shown]
	v_fma_f64 v[23:24], v[67:68], s[2:3], v[63:64]
	v_fma_f64 v[39:40], v[73:74], s[10:11], v[75:76]
	;; [unrolled: 1-line block ×16, first 2 shown]
	s_addc_u32 s2, s5, 0
	s_mov_b32 s3, exec_lo
	v_add_f64 v[0:1], v[15:16], v[11:12]
	v_add_f64 v[2:3], v[9:10], v[13:14]
	;; [unrolled: 1-line block ×4, first 2 shown]
	v_fma_f64 v[9:10], v[57:58], s[14:15], v[23:24]
	v_fma_f64 v[11:12], v[61:62], s[14:15], v[39:40]
	;; [unrolled: 1-line block ×16, first 2 shown]
	ds_store_b128 v48, v[0:3]
	ds_store_b128 v48, v[5:8] offset:880
	ds_store_b128 v48, v[9:12] offset:1760
	;; [unrolled: 1-line block ×9, first 2 shown]
	s_waitcnt lgkmcnt(0)
	s_barrier
	buffer_gl0_inv
	ds_load_b128 v[0:3], v48
	v_lshlrev_b32_e32 v5, 4, v44
                                        ; implicit-def: $vgpr7_vgpr8
                                        ; implicit-def: $vgpr9_vgpr10
	s_delay_alu instid0(VALU_DEP_1)
	v_sub_nc_u32_e32 v11, 0, v5
                                        ; implicit-def: $vgpr5_vgpr6
	v_cmpx_ne_u32_e32 0, v44
	s_xor_b32 s3, exec_lo, s3
	s_cbranch_execz .LBB0_15
; %bb.14:
	v_mov_b32_e32 v45, v4
	ds_load_b128 v[12:15], v11 offset:8800
	v_lshlrev_b64 v[4:5], 4, v[44:45]
	s_delay_alu instid0(VALU_DEP_1) | instskip(NEXT) | instid1(VALU_DEP_1)
	v_add_co_u32 v4, s0, s1, v4
	v_add_co_ci_u32_e64 v5, s0, s2, v5, s0
	global_load_b128 v[7:10], v[4:5], off
	s_waitcnt lgkmcnt(0)
	v_add_f64 v[4:5], v[0:1], -v[12:13]
	v_add_f64 v[16:17], v[2:3], v[14:15]
	v_add_f64 v[2:3], v[2:3], -v[14:15]
	v_add_f64 v[0:1], v[0:1], v[12:13]
	s_delay_alu instid0(VALU_DEP_4) | instskip(NEXT) | instid1(VALU_DEP_4)
	v_mul_f64 v[4:5], v[4:5], 0.5
	v_mul_f64 v[14:15], v[16:17], 0.5
	s_delay_alu instid0(VALU_DEP_4) | instskip(SKIP_1) | instid1(VALU_DEP_3)
	v_mul_f64 v[2:3], v[2:3], 0.5
	s_waitcnt vmcnt(0)
	v_mul_f64 v[12:13], v[4:5], v[9:10]
	s_delay_alu instid0(VALU_DEP_2) | instskip(SKIP_1) | instid1(VALU_DEP_3)
	v_fma_f64 v[16:17], v[14:15], v[9:10], v[2:3]
	v_fma_f64 v[2:3], v[14:15], v[9:10], -v[2:3]
	v_fma_f64 v[9:10], v[0:1], 0.5, v[12:13]
	v_fma_f64 v[0:1], v[0:1], 0.5, -v[12:13]
	s_delay_alu instid0(VALU_DEP_4) | instskip(NEXT) | instid1(VALU_DEP_4)
	v_fma_f64 v[12:13], -v[7:8], v[4:5], v[16:17]
	v_fma_f64 v[2:3], -v[7:8], v[4:5], v[2:3]
	ds_store_b64 v48, v[12:13] offset:8
	ds_store_b64 v11, v[2:3] offset:8808
	v_fma_f64 v[5:6], v[14:15], v[7:8], v[9:10]
	v_fma_f64 v[7:8], -v[14:15], v[7:8], v[0:1]
	v_dual_mov_b32 v9, v44 :: v_dual_mov_b32 v10, v45
                                        ; implicit-def: $vgpr0_vgpr1
.LBB0_15:
	s_and_not1_saveexec_b32 s0, s3
	s_cbranch_execz .LBB0_17
; %bb.16:
	s_waitcnt lgkmcnt(0)
	v_add_f64 v[5:6], v[0:1], v[2:3]
	v_add_f64 v[7:8], v[0:1], -v[2:3]
	s_mov_b32 s4, 0
	v_dual_mov_b32 v2, 0 :: v_dual_mov_b32 v9, 0
	s_mov_b32 s5, s4
	s_delay_alu instid0(SALU_CYCLE_1)
	v_dual_mov_b32 v0, s4 :: v_dual_mov_b32 v1, s5
	v_mov_b32_e32 v10, 0
	ds_store_b64 v48, v[0:1] offset:8
	ds_store_b64 v11, v[0:1] offset:8808
	ds_load_b64 v[0:1], v2 offset:4408
	s_waitcnt lgkmcnt(0)
	v_xor_b32_e32 v1, 0x80000000, v1
	ds_store_b64 v2, v[0:1] offset:4408
.LBB0_17:
	s_or_b32 exec_lo, exec_lo, s0
	s_waitcnt lgkmcnt(0)
	v_lshlrev_b64 v[0:1], 4, v[9:10]
	v_add_nc_u32_e32 v10, 0x800, v48
	s_delay_alu instid0(VALU_DEP_2) | instskip(NEXT) | instid1(VALU_DEP_1)
	v_add_co_u32 v20, s0, s1, v0
	v_add_co_ci_u32_e64 v21, s0, s2, v1, s0
	s_clause 0x1
	global_load_b128 v[12:15], v[20:21], off offset:880
	global_load_b128 v[16:19], v[20:21], off offset:1760
	ds_store_b64 v48, v[5:6]
	ds_store_b64 v11, v[7:8] offset:8800
	ds_load_b128 v[2:5], v48 offset:880
	ds_load_b128 v[6:9], v11 offset:7920
	s_waitcnt lgkmcnt(0)
	v_add_f64 v[22:23], v[2:3], -v[6:7]
	v_add_f64 v[24:25], v[4:5], v[8:9]
	v_add_f64 v[4:5], v[4:5], -v[8:9]
	v_add_f64 v[2:3], v[2:3], v[6:7]
	s_delay_alu instid0(VALU_DEP_4) | instskip(NEXT) | instid1(VALU_DEP_4)
	v_mul_f64 v[8:9], v[22:23], 0.5
	v_mul_f64 v[22:23], v[24:25], 0.5
	s_delay_alu instid0(VALU_DEP_4) | instskip(SKIP_1) | instid1(VALU_DEP_3)
	v_mul_f64 v[4:5], v[4:5], 0.5
	s_waitcnt vmcnt(1)
	v_mul_f64 v[6:7], v[8:9], v[14:15]
	s_delay_alu instid0(VALU_DEP_2) | instskip(SKIP_1) | instid1(VALU_DEP_3)
	v_fma_f64 v[24:25], v[22:23], v[14:15], v[4:5]
	v_fma_f64 v[4:5], v[22:23], v[14:15], -v[4:5]
	v_fma_f64 v[14:15], v[2:3], 0.5, v[6:7]
	v_fma_f64 v[2:3], v[2:3], 0.5, -v[6:7]
	s_delay_alu instid0(VALU_DEP_4) | instskip(NEXT) | instid1(VALU_DEP_4)
	v_fma_f64 v[24:25], -v[12:13], v[8:9], v[24:25]
	v_fma_f64 v[4:5], -v[12:13], v[8:9], v[4:5]
	global_load_b128 v[6:9], v[20:21], off offset:2640
	v_fma_f64 v[14:15], v[22:23], v[12:13], v[14:15]
	v_fma_f64 v[2:3], -v[22:23], v[12:13], v[2:3]
	ds_store_2addr_b64 v48, v[14:15], v[24:25] offset0:110 offset1:111
	ds_store_b128 v11, v[2:5] offset:7920
	ds_load_b128 v[2:5], v48 offset:1760
	ds_load_b128 v[12:15], v11 offset:7040
	s_waitcnt lgkmcnt(0)
	v_add_f64 v[22:23], v[2:3], -v[12:13]
	v_add_f64 v[24:25], v[4:5], v[14:15]
	v_add_f64 v[4:5], v[4:5], -v[14:15]
	v_add_f64 v[2:3], v[2:3], v[12:13]
	s_delay_alu instid0(VALU_DEP_4) | instskip(NEXT) | instid1(VALU_DEP_4)
	v_mul_f64 v[14:15], v[22:23], 0.5
	v_mul_f64 v[22:23], v[24:25], 0.5
	s_delay_alu instid0(VALU_DEP_4) | instskip(SKIP_1) | instid1(VALU_DEP_3)
	v_mul_f64 v[4:5], v[4:5], 0.5
	s_waitcnt vmcnt(1)
	v_mul_f64 v[12:13], v[14:15], v[18:19]
	s_delay_alu instid0(VALU_DEP_2) | instskip(SKIP_1) | instid1(VALU_DEP_3)
	v_fma_f64 v[24:25], v[22:23], v[18:19], v[4:5]
	v_fma_f64 v[4:5], v[22:23], v[18:19], -v[4:5]
	v_fma_f64 v[18:19], v[2:3], 0.5, v[12:13]
	v_fma_f64 v[2:3], v[2:3], 0.5, -v[12:13]
	s_delay_alu instid0(VALU_DEP_4) | instskip(NEXT) | instid1(VALU_DEP_4)
	v_fma_f64 v[24:25], -v[16:17], v[14:15], v[24:25]
	v_fma_f64 v[4:5], -v[16:17], v[14:15], v[4:5]
	global_load_b128 v[12:15], v[20:21], off offset:3520
	v_fma_f64 v[18:19], v[22:23], v[16:17], v[18:19]
	v_fma_f64 v[2:3], -v[22:23], v[16:17], v[2:3]
	ds_store_2addr_b64 v48, v[18:19], v[24:25] offset0:220 offset1:221
	ds_store_b128 v11, v[2:5] offset:7040
	ds_load_b128 v[2:5], v48 offset:2640
	ds_load_b128 v[16:19], v11 offset:6160
	s_waitcnt lgkmcnt(0)
	v_add_f64 v[20:21], v[2:3], -v[16:17]
	v_add_f64 v[22:23], v[4:5], v[18:19]
	v_add_f64 v[4:5], v[4:5], -v[18:19]
	v_add_f64 v[2:3], v[2:3], v[16:17]
	s_delay_alu instid0(VALU_DEP_4) | instskip(NEXT) | instid1(VALU_DEP_4)
	v_mul_f64 v[18:19], v[20:21], 0.5
	v_mul_f64 v[20:21], v[22:23], 0.5
	s_delay_alu instid0(VALU_DEP_4) | instskip(SKIP_1) | instid1(VALU_DEP_3)
	v_mul_f64 v[4:5], v[4:5], 0.5
	s_waitcnt vmcnt(1)
	v_mul_f64 v[16:17], v[18:19], v[8:9]
	s_delay_alu instid0(VALU_DEP_2) | instskip(SKIP_1) | instid1(VALU_DEP_3)
	v_fma_f64 v[22:23], v[20:21], v[8:9], v[4:5]
	v_fma_f64 v[4:5], v[20:21], v[8:9], -v[4:5]
	v_fma_f64 v[8:9], v[2:3], 0.5, v[16:17]
	v_fma_f64 v[2:3], v[2:3], 0.5, -v[16:17]
	s_delay_alu instid0(VALU_DEP_4) | instskip(NEXT) | instid1(VALU_DEP_4)
	v_fma_f64 v[16:17], -v[6:7], v[18:19], v[22:23]
	v_fma_f64 v[4:5], -v[6:7], v[18:19], v[4:5]
	s_delay_alu instid0(VALU_DEP_4) | instskip(NEXT) | instid1(VALU_DEP_4)
	v_fma_f64 v[8:9], v[20:21], v[6:7], v[8:9]
	v_fma_f64 v[2:3], -v[20:21], v[6:7], v[2:3]
	ds_store_2addr_b64 v10, v[8:9], v[16:17] offset0:74 offset1:75
	ds_store_b128 v11, v[2:5] offset:6160
	ds_load_b128 v[2:5], v48 offset:3520
	ds_load_b128 v[6:9], v11 offset:5280
	s_waitcnt lgkmcnt(0)
	v_add_f64 v[16:17], v[2:3], -v[6:7]
	v_add_f64 v[18:19], v[4:5], v[8:9]
	v_add_f64 v[4:5], v[4:5], -v[8:9]
	v_add_f64 v[2:3], v[2:3], v[6:7]
	s_delay_alu instid0(VALU_DEP_4) | instskip(NEXT) | instid1(VALU_DEP_4)
	v_mul_f64 v[8:9], v[16:17], 0.5
	v_mul_f64 v[16:17], v[18:19], 0.5
	s_delay_alu instid0(VALU_DEP_4) | instskip(SKIP_1) | instid1(VALU_DEP_3)
	v_mul_f64 v[4:5], v[4:5], 0.5
	s_waitcnt vmcnt(0)
	v_mul_f64 v[6:7], v[8:9], v[14:15]
	s_delay_alu instid0(VALU_DEP_2) | instskip(SKIP_1) | instid1(VALU_DEP_3)
	v_fma_f64 v[18:19], v[16:17], v[14:15], v[4:5]
	v_fma_f64 v[4:5], v[16:17], v[14:15], -v[4:5]
	v_fma_f64 v[14:15], v[2:3], 0.5, v[6:7]
	v_fma_f64 v[2:3], v[2:3], 0.5, -v[6:7]
	s_delay_alu instid0(VALU_DEP_4) | instskip(NEXT) | instid1(VALU_DEP_4)
	v_fma_f64 v[6:7], -v[12:13], v[8:9], v[18:19]
	v_fma_f64 v[4:5], -v[12:13], v[8:9], v[4:5]
	s_delay_alu instid0(VALU_DEP_4) | instskip(NEXT) | instid1(VALU_DEP_4)
	v_fma_f64 v[8:9], v[16:17], v[12:13], v[14:15]
	v_fma_f64 v[2:3], -v[16:17], v[12:13], v[2:3]
	ds_store_2addr_b64 v10, v[8:9], v[6:7] offset0:184 offset1:185
	ds_store_b128 v11, v[2:5] offset:5280
	s_waitcnt lgkmcnt(0)
	s_barrier
	buffer_gl0_inv
	s_and_saveexec_b32 s0, vcc_lo
	s_cbranch_execz .LBB0_20
; %bb.18:
	ds_load_b128 v[4:7], v48
	ds_load_b128 v[8:11], v48 offset:880
	ds_load_b128 v[12:15], v48 offset:1760
	;; [unrolled: 1-line block ×9, first 2 shown]
	v_add_co_u32 v2, vcc_lo, s8, v46
	v_add_co_ci_u32_e32 v3, vcc_lo, s9, v47, vcc_lo
	s_delay_alu instid0(VALU_DEP_2) | instskip(NEXT) | instid1(VALU_DEP_2)
	v_add_co_u32 v0, vcc_lo, v2, v0
	v_add_co_ci_u32_e32 v1, vcc_lo, v3, v1, vcc_lo
	s_delay_alu instid0(VALU_DEP_2) | instskip(NEXT) | instid1(VALU_DEP_2)
	v_add_co_u32 v45, vcc_lo, 0x1000, v0
	v_add_co_ci_u32_e32 v46, vcc_lo, 0, v1, vcc_lo
	v_cmp_eq_u32_e32 vcc_lo, 54, v44
	s_waitcnt lgkmcnt(9)
	global_store_b128 v[0:1], v[4:7], off
	s_waitcnt lgkmcnt(8)
	global_store_b128 v[0:1], v[8:11], off offset:880
	s_waitcnt lgkmcnt(7)
	global_store_b128 v[0:1], v[12:15], off offset:1760
	;; [unrolled: 2-line block ×9, first 2 shown]
	s_and_b32 exec_lo, exec_lo, vcc_lo
	s_cbranch_execz .LBB0_20
; %bb.19:
	v_mov_b32_e32 v0, 0
	ds_load_b128 v[4:7], v0 offset:8800
	v_add_co_u32 v0, vcc_lo, 0x2000, v2
	v_add_co_ci_u32_e32 v1, vcc_lo, 0, v3, vcc_lo
	s_waitcnt lgkmcnt(0)
	global_store_b128 v[0:1], v[4:7], off offset:608
.LBB0_20:
	s_nop 0
	s_sendmsg sendmsg(MSG_DEALLOC_VGPRS)
	s_endpgm
	.section	.rodata,"a",@progbits
	.p2align	6, 0x0
	.amdhsa_kernel fft_rtc_fwd_len550_factors_11_10_5_wgs_55_tpt_55_dp_ip_CI_unitstride_sbrr_R2C_dirReg
		.amdhsa_group_segment_fixed_size 0
		.amdhsa_private_segment_fixed_size 0
		.amdhsa_kernarg_size 88
		.amdhsa_user_sgpr_count 15
		.amdhsa_user_sgpr_dispatch_ptr 0
		.amdhsa_user_sgpr_queue_ptr 0
		.amdhsa_user_sgpr_kernarg_segment_ptr 1
		.amdhsa_user_sgpr_dispatch_id 0
		.amdhsa_user_sgpr_private_segment_size 0
		.amdhsa_wavefront_size32 1
		.amdhsa_uses_dynamic_stack 0
		.amdhsa_enable_private_segment 0
		.amdhsa_system_sgpr_workgroup_id_x 1
		.amdhsa_system_sgpr_workgroup_id_y 0
		.amdhsa_system_sgpr_workgroup_id_z 0
		.amdhsa_system_sgpr_workgroup_info 0
		.amdhsa_system_vgpr_workitem_id 0
		.amdhsa_next_free_vgpr 167
		.amdhsa_next_free_sgpr 36
		.amdhsa_reserve_vcc 1
		.amdhsa_float_round_mode_32 0
		.amdhsa_float_round_mode_16_64 0
		.amdhsa_float_denorm_mode_32 3
		.amdhsa_float_denorm_mode_16_64 3
		.amdhsa_dx10_clamp 1
		.amdhsa_ieee_mode 1
		.amdhsa_fp16_overflow 0
		.amdhsa_workgroup_processor_mode 1
		.amdhsa_memory_ordered 1
		.amdhsa_forward_progress 0
		.amdhsa_shared_vgpr_count 0
		.amdhsa_exception_fp_ieee_invalid_op 0
		.amdhsa_exception_fp_denorm_src 0
		.amdhsa_exception_fp_ieee_div_zero 0
		.amdhsa_exception_fp_ieee_overflow 0
		.amdhsa_exception_fp_ieee_underflow 0
		.amdhsa_exception_fp_ieee_inexact 0
		.amdhsa_exception_int_div_zero 0
	.end_amdhsa_kernel
	.text
.Lfunc_end0:
	.size	fft_rtc_fwd_len550_factors_11_10_5_wgs_55_tpt_55_dp_ip_CI_unitstride_sbrr_R2C_dirReg, .Lfunc_end0-fft_rtc_fwd_len550_factors_11_10_5_wgs_55_tpt_55_dp_ip_CI_unitstride_sbrr_R2C_dirReg
                                        ; -- End function
	.section	.AMDGPU.csdata,"",@progbits
; Kernel info:
; codeLenInByte = 9496
; NumSgprs: 38
; NumVgprs: 167
; ScratchSize: 0
; MemoryBound: 0
; FloatMode: 240
; IeeeMode: 1
; LDSByteSize: 0 bytes/workgroup (compile time only)
; SGPRBlocks: 4
; VGPRBlocks: 20
; NumSGPRsForWavesPerEU: 38
; NumVGPRsForWavesPerEU: 167
; Occupancy: 9
; WaveLimiterHint : 1
; COMPUTE_PGM_RSRC2:SCRATCH_EN: 0
; COMPUTE_PGM_RSRC2:USER_SGPR: 15
; COMPUTE_PGM_RSRC2:TRAP_HANDLER: 0
; COMPUTE_PGM_RSRC2:TGID_X_EN: 1
; COMPUTE_PGM_RSRC2:TGID_Y_EN: 0
; COMPUTE_PGM_RSRC2:TGID_Z_EN: 0
; COMPUTE_PGM_RSRC2:TIDIG_COMP_CNT: 0
	.text
	.p2alignl 7, 3214868480
	.fill 96, 4, 3214868480
	.type	__hip_cuid_4eca8054f3e7a4d7,@object ; @__hip_cuid_4eca8054f3e7a4d7
	.section	.bss,"aw",@nobits
	.globl	__hip_cuid_4eca8054f3e7a4d7
__hip_cuid_4eca8054f3e7a4d7:
	.byte	0                               ; 0x0
	.size	__hip_cuid_4eca8054f3e7a4d7, 1

	.ident	"AMD clang version 19.0.0git (https://github.com/RadeonOpenCompute/llvm-project roc-6.4.0 25133 c7fe45cf4b819c5991fe208aaa96edf142730f1d)"
	.section	".note.GNU-stack","",@progbits
	.addrsig
	.addrsig_sym __hip_cuid_4eca8054f3e7a4d7
	.amdgpu_metadata
---
amdhsa.kernels:
  - .args:
      - .actual_access:  read_only
        .address_space:  global
        .offset:         0
        .size:           8
        .value_kind:     global_buffer
      - .offset:         8
        .size:           8
        .value_kind:     by_value
      - .actual_access:  read_only
        .address_space:  global
        .offset:         16
        .size:           8
        .value_kind:     global_buffer
      - .actual_access:  read_only
        .address_space:  global
        .offset:         24
        .size:           8
        .value_kind:     global_buffer
      - .offset:         32
        .size:           8
        .value_kind:     by_value
      - .actual_access:  read_only
        .address_space:  global
        .offset:         40
        .size:           8
        .value_kind:     global_buffer
      - .actual_access:  read_only
        .address_space:  global
        .offset:         48
        .size:           8
        .value_kind:     global_buffer
      - .offset:         56
        .size:           4
        .value_kind:     by_value
      - .actual_access:  read_only
        .address_space:  global
        .offset:         64
        .size:           8
        .value_kind:     global_buffer
      - .actual_access:  read_only
        .address_space:  global
        .offset:         72
        .size:           8
        .value_kind:     global_buffer
      - .address_space:  global
        .offset:         80
        .size:           8
        .value_kind:     global_buffer
    .group_segment_fixed_size: 0
    .kernarg_segment_align: 8
    .kernarg_segment_size: 88
    .language:       OpenCL C
    .language_version:
      - 2
      - 0
    .max_flat_workgroup_size: 55
    .name:           fft_rtc_fwd_len550_factors_11_10_5_wgs_55_tpt_55_dp_ip_CI_unitstride_sbrr_R2C_dirReg
    .private_segment_fixed_size: 0
    .sgpr_count:     38
    .sgpr_spill_count: 0
    .symbol:         fft_rtc_fwd_len550_factors_11_10_5_wgs_55_tpt_55_dp_ip_CI_unitstride_sbrr_R2C_dirReg.kd
    .uniform_work_group_size: 1
    .uses_dynamic_stack: false
    .vgpr_count:     167
    .vgpr_spill_count: 0
    .wavefront_size: 32
    .workgroup_processor_mode: 1
amdhsa.target:   amdgcn-amd-amdhsa--gfx1100
amdhsa.version:
  - 1
  - 2
...

	.end_amdgpu_metadata
